;; amdgpu-corpus repo=ROCm/rocFFT kind=compiled arch=gfx906 opt=O3
	.text
	.amdgcn_target "amdgcn-amd-amdhsa--gfx906"
	.amdhsa_code_object_version 6
	.protected	fft_rtc_fwd_len343_factors_7_7_7_wgs_245_tpt_49_sp_op_CI_CI_sbrc_z_xy_unaligned_dirReg ; -- Begin function fft_rtc_fwd_len343_factors_7_7_7_wgs_245_tpt_49_sp_op_CI_CI_sbrc_z_xy_unaligned_dirReg
	.globl	fft_rtc_fwd_len343_factors_7_7_7_wgs_245_tpt_49_sp_op_CI_CI_sbrc_z_xy_unaligned_dirReg
	.p2align	8
	.type	fft_rtc_fwd_len343_factors_7_7_7_wgs_245_tpt_49_sp_op_CI_CI_sbrc_z_xy_unaligned_dirReg,@function
fft_rtc_fwd_len343_factors_7_7_7_wgs_245_tpt_49_sp_op_CI_CI_sbrc_z_xy_unaligned_dirReg: ; @fft_rtc_fwd_len343_factors_7_7_7_wgs_245_tpt_49_sp_op_CI_CI_sbrc_z_xy_unaligned_dirReg
; %bb.0:
	s_load_dwordx8 s[8:15], s[4:5], 0x0
	s_waitcnt lgkmcnt(0)
	s_load_dwordx4 s[16:19], s[12:13], 0x8
	s_nop 0
	s_load_dwordx2 s[12:13], s[4:5], 0x20
	s_load_dwordx4 s[20:23], s[14:15], 0x0
	s_load_dword s3, s[14:15], 0x10
	s_waitcnt lgkmcnt(0)
	s_add_i32 s0, s16, -1
	s_mul_hi_u32 s0, s0, 0xcccccccd
	s_lshr_b32 s0, s0, 2
	s_add_i32 s1, s0, 1
	s_mul_i32 s2, s1, s18
	v_cvt_f32_u32_e32 v2, s2
	v_cvt_f32_u32_e32 v1, s1
	s_sub_i32 s7, 0, s2
	v_rcp_iflag_f32_e32 v2, v2
	v_rcp_iflag_f32_e32 v1, v1
	v_mul_f32_e32 v2, 0x4f7ffffe, v2
	v_cvt_u32_f32_e32 v2, v2
	v_mul_f32_e32 v1, 0x4f7ffffe, v1
	v_cvt_u32_f32_e32 v1, v1
	v_readfirstlane_b32 s17, v2
	s_mul_i32 s7, s7, s17
	s_mul_hi_u32 s7, s17, s7
	s_add_i32 s17, s17, s7
	s_mul_hi_u32 s7, s6, s17
	s_mul_i32 s17, s7, s2
	s_sub_i32 s17, s6, s17
	s_add_i32 s19, s7, 1
	s_sub_i32 s23, s17, s2
	s_cmp_ge_u32 s17, s2
	s_cselect_b32 s7, s19, s7
	s_cselect_b32 s17, s23, s17
	s_add_i32 s19, s7, 1
	s_cmp_ge_u32 s17, s2
	v_readfirstlane_b32 s18, v1
	s_cselect_b32 s17, s19, s7
	s_not_b32 s0, s0
	s_mul_i32 s0, s0, s18
	s_mul_i32 s2, s17, s2
	s_mul_hi_u32 s0, s18, s0
	s_sub_i32 s2, s6, s2
	s_add_i32 s18, s18, s0
	s_mul_hi_u32 s0, s2, s18
	s_mul_i32 s7, s0, s1
	s_sub_i32 s2, s2, s7
	s_add_i32 s19, s0, 1
	s_sub_i32 s7, s2, s1
	s_cmp_ge_u32 s2, s1
	s_cselect_b32 s0, s19, s0
	s_cselect_b32 s2, s7, s2
	s_add_i32 s7, s0, 1
	s_cmp_ge_u32 s2, s1
	s_cselect_b32 s23, s7, s0
	s_mul_hi_u32 s0, s6, s18
	s_mul_i32 s0, s0, s1
	s_sub_i32 s0, s6, s0
	s_sub_i32 s2, s0, s1
	s_cmp_ge_u32 s0, s1
	s_cselect_b32 s0, s2, s0
	s_sub_i32 s2, s0, s1
	s_cmp_ge_u32 s0, s1
	s_cselect_b32 s26, s2, s0
	s_mul_i32 s26, s26, 5
	s_mul_i32 s0, s23, s3
	;; [unrolled: 1-line block ×3, first 2 shown]
	s_add_i32 s27, s1, s0
	s_lshl_b64 s[10:11], s[10:11], 3
	s_add_u32 s18, s14, s10
	s_addc_u32 s19, s15, s11
	s_load_dwordx2 s[24:25], s[18:19], 0x0
	s_load_dwordx2 s[14:15], s[4:5], 0x58
	s_load_dwordx4 s[0:3], s[12:13], 0x0
	s_load_dwordx2 s[6:7], s[12:13], 0x10
	s_waitcnt lgkmcnt(0)
	s_mul_i32 s3, s25, s17
	s_mul_hi_u32 s7, s24, s17
	s_add_i32 s7, s7, s3
	s_mul_i32 s3, s24, s17
	s_add_u32 s18, s3, s27
	s_addc_u32 s19, s7, 0
	s_add_u32 s10, s12, s10
	s_addc_u32 s11, s13, s11
	s_load_dwordx2 s[10:11], s[10:11], 0x0
	s_add_i32 s3, s26, 5
	s_cmp_le_u32 s3, s16
	s_cselect_b64 s[12:13], -1, 0
	s_mov_b64 s[24:25], -1
	s_and_b64 vcc, exec, s[12:13]
	s_cbranch_vccnz .LBB0_4
; %bb.1:
	s_lshl_b64 s[24:25], s[18:19], 3
	s_add_u32 s3, s14, s24
	s_addc_u32 s27, s15, s25
	s_mov_b64 s[24:25], 0
	s_movk_i32 s7, 0x7e23
	v_mov_b32_e32 v2, 0
	v_mov_b32_e32 v3, s27
	s_movk_i32 s27, 0x6b2
	v_mov_b32_e32 v4, v0
.LBB0_2:                                ; =>This Inner Loop Header: Depth=1
	v_mul_u32_u24_sdwa v1, v4, s7 dst_sel:DWORD dst_unused:UNUSED_PAD src0_sel:WORD_0 src1_sel:DWORD
	v_sub_u16_sdwa v5, v4, v1 dst_sel:DWORD dst_unused:UNUSED_PAD src0_sel:DWORD src1_sel:WORD_1
	v_lshrrev_b16_e32 v5, 1, v5
	v_add_u16_sdwa v1, v5, v1 dst_sel:DWORD dst_unused:UNUSED_PAD src0_sel:DWORD src1_sel:WORD_1
	v_lshrrev_b16_e32 v11, 8, v1
	v_mul_lo_u16_e32 v5, 0x157, v11
	v_sub_u16_e32 v12, v4, v5
	v_mul_lo_u32 v1, s22, v11
	v_mad_u64_u32 v[5:6], s[28:29], s20, v12, 0
	v_add_u32_e32 v4, 0xf5, v4
	v_lshlrev_b64 v[7:8], 3, v[1:2]
	v_mov_b32_e32 v1, v6
	v_mad_u64_u32 v[9:10], s[28:29], s21, v12, v[1:2]
	v_mov_b32_e32 v6, v9
	v_lshlrev_b64 v[5:6], 3, v[5:6]
	v_add_co_u32_e32 v1, vcc, s3, v5
	v_addc_co_u32_e32 v6, vcc, v3, v6, vcc
	v_add_co_u32_e32 v5, vcc, v1, v7
	v_addc_co_u32_e32 v6, vcc, v6, v8, vcc
	global_load_dwordx2 v[5:6], v[5:6], off
	v_mad_legacy_u16 v1, v12, 5, v11
	v_cmp_lt_u32_e32 vcc, s27, v4
	v_lshl_add_u32 v1, v1, 3, 0
	s_or_b64 s[24:25], vcc, s[24:25]
	s_waitcnt vmcnt(0)
	ds_write_b64 v1, v[5:6]
	s_andn2_b64 exec, exec, s[24:25]
	s_cbranch_execnz .LBB0_2
; %bb.3:
	s_or_b64 exec, exec, s[24:25]
	s_mov_b64 s[24:25], 0
.LBB0_4:
	s_and_b64 vcc, exec, s[24:25]
	s_cbranch_vccz .LBB0_6
; %bb.5:
	v_and_b32_e32 v3, 0xffff, v0
	v_mad_u64_u32 v[1:2], s[24:25], s20, v3, 0
	s_lshl_b64 s[18:19], s[18:19], 3
	s_add_u32 s3, s14, s18
	v_mad_u64_u32 v[2:3], s[24:25], s21, v3, v[2:3]
	v_add_u16_e32 v3, 0xf5, v0
	v_mul_u32_u24_e32 v4, 0x17f, v3
	v_lshrrev_b32_e32 v29, 17, v4
	v_mul_lo_u16_e32 v4, 0x157, v29
	v_sub_u16_e32 v30, v3, v4
	v_mad_u64_u32 v[3:4], s[24:25], s20, v30, 0
	s_addc_u32 s7, s15, s19
	v_lshlrev_b64 v[1:2], 3, v[1:2]
	v_mad_u64_u32 v[4:5], s[14:15], s21, v30, v[4:5]
	v_mul_lo_u32 v5, s22, v29
	v_mov_b32_e32 v6, s7
	v_add_co_u32_e32 v1, vcc, s3, v1
	v_lshlrev_b64 v[3:4], 3, v[3:4]
	v_addc_co_u32_e32 v2, vcc, v6, v2, vcc
	v_mov_b32_e32 v6, 0
	v_mov_b32_e32 v7, s7
	v_add_co_u32_e32 v14, vcc, s3, v3
	v_addc_co_u32_e32 v15, vcc, v7, v4, vcc
	v_lshlrev_b64 v[3:4], 3, v[5:6]
	v_add_u16_e32 v5, 0x1ea, v0
	v_mul_u32_u24_e32 v7, 0x2fd, v5
	v_lshrrev_b32_e32 v31, 18, v7
	v_mul_lo_u16_e32 v7, 0x157, v31
	v_sub_u16_e32 v32, v5, v7
	v_add_u16_e32 v5, 0x2df, v0
	v_mul_u32_u24_e32 v9, 0x2fd, v5
	v_lshrrev_b32_e32 v33, 18, v9
	v_mad_u64_u32 v[7:8], s[14:15], s20, v32, 0
	v_mul_lo_u16_e32 v9, 0x157, v33
	v_sub_u16_e32 v34, v5, v9
	v_mad_u64_u32 v[9:10], s[14:15], s20, v34, 0
	v_mov_b32_e32 v5, v8
	v_mad_u64_u32 v[11:12], s[14:15], s21, v32, v[5:6]
	v_mov_b32_e32 v5, v10
	v_mad_u64_u32 v[12:13], s[14:15], s21, v34, v[5:6]
	v_mov_b32_e32 v8, v11
	v_add_co_u32_e32 v3, vcc, v14, v3
	v_lshlrev_b64 v[7:8], 3, v[7:8]
	v_addc_co_u32_e32 v4, vcc, v15, v4, vcc
	v_mov_b32_e32 v10, v12
	v_mov_b32_e32 v11, s7
	v_lshlrev_b64 v[9:10], 3, v[9:10]
	v_add_co_u32_e32 v13, vcc, s3, v7
	v_addc_co_u32_e32 v11, vcc, v11, v8, vcc
	v_mov_b32_e32 v12, s7
	v_add_co_u32_e32 v15, vcc, s3, v9
	v_add_u16_e32 v9, 0x3d4, v0
	v_mul_lo_u32 v5, s22, v31
	v_addc_co_u32_e32 v16, vcc, v12, v10, vcc
	v_mul_u32_u24_e32 v10, 0x5f9, v9
	v_lshrrev_b32_e32 v35, 19, v10
	v_mul_lo_u16_e32 v10, 0x157, v35
	v_sub_u16_e32 v36, v9, v10
	v_lshlrev_b64 v[7:8], 3, v[5:6]
	v_mul_lo_u32 v5, s22, v33
	v_mad_u64_u32 v[9:10], s[14:15], s20, v36, 0
	v_add_co_u32_e32 v7, vcc, v13, v7
	v_addc_co_u32_e32 v8, vcc, v11, v8, vcc
	v_lshlrev_b64 v[11:12], 3, v[5:6]
	v_mov_b32_e32 v5, v10
	v_mad_u64_u32 v[13:14], s[14:15], s21, v36, v[5:6]
	v_mul_lo_u32 v5, s22, v35
	v_add_co_u32_e32 v11, vcc, v15, v11
	v_mov_b32_e32 v10, v13
	v_lshlrev_b64 v[9:10], 3, v[9:10]
	v_addc_co_u32_e32 v12, vcc, v16, v12, vcc
	v_mov_b32_e32 v13, s7
	v_add_co_u32_e32 v15, vcc, s3, v9
	v_addc_co_u32_e32 v16, vcc, v13, v10, vcc
	v_lshlrev_b64 v[9:10], 3, v[5:6]
	v_add_u16_e32 v5, 0x4c9, v0
	v_mul_u32_u24_e32 v13, 0x5f9, v5
	v_lshrrev_b32_e32 v37, 19, v13
	v_mul_lo_u16_e32 v13, 0x157, v37
	v_sub_u16_e32 v38, v5, v13
	v_mad_u64_u32 v[13:14], s[14:15], s20, v38, 0
	v_add_co_u32_e32 v9, vcc, v15, v9
	v_mov_b32_e32 v5, v14
	v_mad_u64_u32 v[14:15], s[14:15], s21, v38, v[5:6]
	v_mul_lo_u32 v5, s22, v37
	v_addc_co_u32_e32 v10, vcc, v16, v10, vcc
	v_lshlrev_b64 v[13:14], 3, v[13:14]
	v_mov_b32_e32 v15, s7
	v_add_co_u32_e32 v16, vcc, s3, v13
	v_addc_co_u32_e32 v15, vcc, v15, v14, vcc
	v_lshlrev_b64 v[13:14], 3, v[5:6]
	v_add_u16_e32 v5, 0x5be, v0
	v_add_co_u32_e32 v13, vcc, v16, v13
	v_addc_co_u32_e32 v14, vcc, v15, v14, vcc
	v_mul_u32_u24_e32 v15, 0x5f9, v5
	v_lshrrev_b32_e32 v39, 19, v15
	v_mul_lo_u16_e32 v15, 0x157, v39
	v_sub_u16_e32 v40, v5, v15
	v_mad_u64_u32 v[15:16], s[14:15], s20, v40, 0
	v_mov_b32_e32 v5, v16
	v_mad_u64_u32 v[16:17], s[14:15], s21, v40, v[5:6]
	v_mov_b32_e32 v5, s7
	v_lshlrev_b64 v[15:16], 3, v[15:16]
	v_add_co_u32_e32 v15, vcc, s3, v15
	v_addc_co_u32_e32 v16, vcc, v5, v16, vcc
	v_mul_lo_u32 v5, s22, v39
	v_lshlrev_b64 v[5:6], 3, v[5:6]
	v_add_co_u32_e32 v5, vcc, v15, v5
	v_addc_co_u32_e32 v6, vcc, v16, v6, vcc
	global_load_dwordx2 v[15:16], v[1:2], off
	global_load_dwordx2 v[17:18], v[3:4], off
	;; [unrolled: 1-line block ×7, first 2 shown]
	v_mul_lo_u16_e32 v1, 5, v0
	v_lshl_add_u32 v1, v1, 3, 0
	s_waitcnt vmcnt(6)
	ds_write_b64 v1, v[15:16]
	v_mad_legacy_u16 v1, v30, 5, v29
	v_lshl_add_u32 v1, v1, 3, 0
	s_waitcnt vmcnt(5)
	ds_write_b64 v1, v[17:18]
	v_mad_legacy_u16 v1, v32, 5, v31
	;; [unrolled: 4-line block ×6, first 2 shown]
	v_lshl_add_u32 v1, v1, 3, 0
	s_waitcnt vmcnt(0)
	ds_write_b64 v1, v[27:28]
.LBB0_6:
	s_movk_i32 s3, 0x3334
	v_mul_u32_u24_sdwa v1, v0, s3 dst_sel:DWORD dst_unused:UNUSED_PAD src0_sel:WORD_0 src1_sel:DWORD
	s_mov_b32 s3, 0x33333334
	v_mul_hi_u32 v4, v0, s3
	v_mov_b32_e32 v2, 5
	v_mul_lo_u16_sdwa v1, v1, v2 dst_sel:DWORD dst_unused:UNUSED_PAD src0_sel:WORD_1 src1_sel:DWORD
	v_sub_u16_e32 v1, v0, v1
	v_mul_u32_u24_e32 v2, 40, v4
	v_lshlrev_b32_e32 v24, 3, v1
	v_add3_u32 v2, 0, v2, v24
	v_add_u32_e32 v3, 0xf00, v2
	v_add_u32_e32 v5, 0x1e80, v2
	s_waitcnt lgkmcnt(0)
	s_barrier
	ds_read2_b64 v[6:9], v3 offset0:10 offset1:255
	ds_read2_b64 v[10:13], v5 offset0:4 offset1:249
	s_mov_b32 s7, 0xbf3bfb3b
	s_mov_b32 s14, 0x3f5ff5aa
	s_movk_i32 s3, 0xf0
	v_mad_u32_u24 v31, v4, s3, v2
	s_waitcnt lgkmcnt(0)
	v_add_f32_e32 v16, v6, v12
	v_add_f32_e32 v17, v7, v13
	v_sub_f32_e32 v18, v6, v12
	v_sub_f32_e32 v19, v7, v13
	ds_read_b64 v[6:7], v2 offset:11760
	ds_read2_b64 v[12:15], v2 offset1:245
	v_add_f32_e32 v20, v8, v10
	v_sub_f32_e32 v8, v10, v8
	v_add_f32_e32 v21, v9, v11
	v_sub_f32_e32 v9, v11, v9
	s_waitcnt lgkmcnt(0)
	v_add_f32_e32 v10, v14, v6
	v_add_f32_e32 v11, v15, v7
	v_sub_f32_e32 v14, v14, v6
	v_add_f32_e32 v6, v16, v10
	v_add_f32_e32 v22, v20, v6
	;; [unrolled: 1-line block ×4, first 2 shown]
	v_sub_f32_e32 v15, v15, v7
	v_add_f32_e32 v6, v22, v12
	v_add_f32_e32 v7, v23, v13
	v_sub_f32_e32 v12, v16, v10
	v_sub_f32_e32 v10, v10, v20
	;; [unrolled: 1-line block ×3, first 2 shown]
	v_add_f32_e32 v20, v8, v18
	v_sub_f32_e32 v16, v17, v11
	v_sub_f32_e32 v11, v11, v21
	;; [unrolled: 1-line block ×6, first 2 shown]
	v_add_f32_e32 v14, v20, v14
	v_add_f32_e32 v8, v9, v19
	v_sub_f32_e32 v20, v9, v19
	v_mov_b32_e32 v27, v6
	v_sub_f32_e32 v26, v15, v9
	v_sub_f32_e32 v19, v19, v15
	v_add_f32_e32 v15, v8, v15
	v_fmac_f32_e32 v27, 0xbf955555, v22
	v_mov_b32_e32 v22, v7
	v_mul_f32_e32 v8, 0x3f4a47b2, v10
	v_mul_f32_e32 v9, 0x3f4a47b2, v11
	;; [unrolled: 1-line block ×4, first 2 shown]
	v_fmac_f32_e32 v22, 0xbf955555, v23
	v_fma_f32 v10, v12, s7, -v8
	v_fmac_f32_e32 v8, 0x3d64c772, v13
	v_fma_f32 v11, v16, s7, -v9
	;; [unrolled: 2-line block ×4, first 2 shown]
	v_fmac_f32_e32 v20, 0x3eae86e6, v26
	v_add_f32_e32 v29, v8, v27
	v_add_f32_e32 v30, v9, v22
	v_fmac_f32_e32 v21, 0x3ee1c552, v14
	v_fmac_f32_e32 v20, 0x3ee1c552, v15
	v_add_f32_e32 v8, v29, v20
	v_sub_f32_e32 v9, v30, v21
	s_barrier
	ds_write2_b64 v31, v[6:7], v[8:9] offset1:5
	s_mov_b32 s15, 0x3f3bfb3b
	v_mul_f32_e32 v6, 0x3d64c772, v13
	v_mul_f32_e32 v8, 0x3f5ff5aa, v18
	s_mov_b32 s18, 0xbeae86e6
	v_fma_f32 v6, v12, s15, -v6
	v_mul_f32_e32 v7, 0x3d64c772, v17
	v_fma_f32 v12, v25, s18, -v8
	v_mul_f32_e32 v8, 0x3f5ff5aa, v19
	v_fma_f32 v7, v16, s15, -v7
	v_fma_f32 v13, v26, s18, -v8
	v_add_f32_e32 v16, v6, v27
	v_add_f32_e32 v10, v10, v27
	;; [unrolled: 1-line block ×4, first 2 shown]
	v_fmac_f32_e32 v23, 0x3ee1c552, v14
	v_fmac_f32_e32 v12, 0x3ee1c552, v14
	;; [unrolled: 1-line block ×4, first 2 shown]
	v_sub_f32_e32 v6, v16, v28
	v_add_f32_e32 v7, v23, v17
	v_add_f32_e32 v8, v13, v10
	v_sub_f32_e32 v9, v11, v12
	ds_write2_b64 v31, v[8:9], v[6:7] offset0:10 offset1:15
	v_add_f32_e32 v6, v28, v16
	v_sub_f32_e32 v7, v17, v23
	v_sub_f32_e32 v8, v10, v13
	v_add_f32_e32 v9, v12, v11
	s_mov_b32 s3, 0x24924925
	v_sub_f32_e32 v10, v29, v20
	v_add_f32_e32 v11, v21, v30
	ds_write2_b64 v31, v[6:7], v[8:9] offset0:20 offset1:25
	ds_write_b64 v31, v[10:11] offset:240
	v_mul_hi_u32 v6, v4, s3
	s_waitcnt lgkmcnt(0)
	s_barrier
	v_mul_u32_u24_e32 v6, 7, v6
	v_sub_u32_e32 v25, v4, v6
	v_mul_u32_u24_e32 v6, 6, v25
	v_lshlrev_b32_e32 v18, 3, v6
	global_load_dwordx4 v[6:9], v18, s[8:9] offset:32
	global_load_dwordx4 v[10:13], v18, s[8:9] offset:16
	global_load_dwordx4 v[14:17], v18, s[8:9]
	ds_read_b64 v[22:23], v2 offset:11760
	ds_read2_b64 v[18:21], v5 offset0:4 offset1:249
	s_mov_b32 s3, 0x7507508
	s_waitcnt vmcnt(2) lgkmcnt(1)
	v_mul_f32_e32 v26, v9, v23
	v_fma_f32 v26, v8, v22, -v26
	v_mul_f32_e32 v22, v9, v22
	v_fmac_f32_e32 v22, v8, v23
	s_waitcnt lgkmcnt(0)
	v_mul_f32_e32 v8, v7, v21
	v_fma_f32 v23, v6, v20, -v8
	v_mul_f32_e32 v20, v7, v20
	v_fmac_f32_e32 v20, v6, v21
	s_waitcnt vmcnt(1)
	v_mul_f32_e32 v6, v13, v19
	v_fma_f32 v21, v12, v18, -v6
	ds_read2_b64 v[6:9], v3 offset0:10 offset1:255
	v_mul_f32_e32 v13, v13, v18
	v_fmac_f32_e32 v13, v12, v19
	s_waitcnt lgkmcnt(0)
	v_mul_f32_e32 v12, v11, v9
	v_fma_f32 v12, v10, v8, -v12
	v_mul_f32_e32 v11, v11, v8
	s_waitcnt vmcnt(0)
	v_mul_f32_e32 v8, v17, v7
	v_mul_f32_e32 v17, v17, v6
	v_fmac_f32_e32 v11, v10, v9
	v_fma_f32 v10, v16, v6, -v8
	v_fmac_f32_e32 v17, v16, v7
	ds_read2_b64 v[6:9], v2 offset1:245
	v_add_f32_e32 v27, v17, v20
	v_add_f32_e32 v28, v11, v13
	v_sub_f32_e32 v17, v17, v20
	v_sub_f32_e32 v11, v13, v11
	s_waitcnt lgkmcnt(0)
	v_mul_f32_e32 v16, v15, v9
	v_fma_f32 v16, v14, v8, -v16
	v_mul_f32_e32 v8, v15, v8
	v_fmac_f32_e32 v8, v14, v9
	v_add_f32_e32 v14, v10, v23
	v_add_f32_e32 v15, v12, v21
	v_sub_f32_e32 v10, v10, v23
	v_sub_f32_e32 v12, v21, v12
	v_add_f32_e32 v9, v16, v26
	v_sub_f32_e32 v16, v16, v26
	v_add_f32_e32 v21, v12, v10
	v_add_f32_e32 v19, v8, v22
	v_sub_f32_e32 v8, v8, v22
	v_sub_f32_e32 v22, v12, v10
	;; [unrolled: 1-line block ×4, first 2 shown]
	v_add_f32_e32 v16, v21, v16
	v_add_f32_e32 v21, v11, v17
	v_sub_f32_e32 v23, v11, v17
	v_sub_f32_e32 v11, v8, v11
	;; [unrolled: 1-line block ×3, first 2 shown]
	v_add_f32_e32 v21, v21, v8
	v_mul_hi_u32 v8, v0, s3
	v_add_f32_e32 v18, v14, v9
	v_add_f32_e32 v18, v15, v18
	;; [unrolled: 1-line block ×5, first 2 shown]
	v_mad_u32_u24 v8, v8, 49, v25
	v_add_f32_e32 v7, v29, v7
	v_sub_f32_e32 v13, v14, v9
	v_sub_f32_e32 v9, v9, v15
	v_sub_f32_e32 v14, v15, v14
	v_sub_f32_e32 v15, v27, v19
	v_sub_f32_e32 v19, v19, v28
	v_mov_b32_e32 v26, v6
	v_mul_i32_i24_e32 v8, 40, v8
	v_sub_f32_e32 v20, v28, v27
	v_fmac_f32_e32 v26, 0xbf955555, v18
	v_mov_b32_e32 v18, v7
	v_add3_u32 v24, 0, v8, v24
	v_mul_f32_e32 v8, 0x3f4a47b2, v9
	v_mul_f32_e32 v9, 0x3f4a47b2, v19
	;; [unrolled: 1-line block ×4, first 2 shown]
	v_fmac_f32_e32 v18, 0xbf955555, v29
	v_fma_f32 v25, v13, s7, -v8
	v_fmac_f32_e32 v8, 0x3d64c772, v14
	v_fma_f32 v19, v15, s7, -v9
	;; [unrolled: 2-line block ×4, first 2 shown]
	v_fmac_f32_e32 v23, 0x3eae86e6, v11
	v_add_f32_e32 v29, v8, v26
	v_add_f32_e32 v30, v9, v18
	v_fmac_f32_e32 v22, 0x3ee1c552, v16
	v_fmac_f32_e32 v23, 0x3ee1c552, v21
	v_add_f32_e32 v8, v23, v29
	v_sub_f32_e32 v9, v30, v22
	s_barrier
	ds_write2_b64 v24, v[6:7], v[8:9] offset1:35
	v_mul_f32_e32 v6, 0x3d64c772, v14
	v_mul_f32_e32 v10, 0x3f5ff5aa, v10
	v_fma_f32 v6, v13, s15, -v6
	v_mul_f32_e32 v7, 0x3d64c772, v20
	v_fma_f32 v13, v12, s18, -v10
	;; [unrolled: 2-line block ×3, first 2 shown]
	v_fma_f32 v12, v11, s18, -v10
	v_add_f32_e32 v8, v6, v26
	v_add_f32_e32 v9, v7, v18
	v_fmac_f32_e32 v27, 0x3ee1c552, v16
	v_fmac_f32_e32 v28, 0x3ee1c552, v21
	v_add_f32_e32 v14, v25, v26
	v_add_f32_e32 v15, v19, v18
	v_fmac_f32_e32 v13, 0x3ee1c552, v16
	v_fmac_f32_e32 v12, 0x3ee1c552, v21
	v_sub_f32_e32 v6, v8, v28
	v_add_f32_e32 v7, v27, v9
	v_add_f32_e32 v10, v12, v14
	v_sub_f32_e32 v11, v15, v13
	v_add_f32_e32 v8, v28, v8
	v_sub_f32_e32 v9, v9, v27
	v_sub_f32_e32 v12, v14, v12
	v_add_f32_e32 v13, v13, v15
	v_sub_f32_e32 v14, v29, v23
	v_add_f32_e32 v15, v22, v30
	ds_write2_b64 v24, v[10:11], v[6:7] offset0:70 offset1:105
	ds_write2_b64 v24, v[8:9], v[12:13] offset0:140 offset1:175
	ds_write_b64 v24, v[14:15] offset:1680
	v_add_u32_e32 v6, s26, v1
	v_cmp_gt_u32_e32 vcc, s16, v6
	s_mov_b32 s3, 0
	s_or_b64 s[12:13], s[12:13], vcc
	s_waitcnt lgkmcnt(0)
	s_barrier
	s_and_saveexec_b64 s[20:21], s[12:13]
	s_cbranch_execz .LBB0_8
; %bb.7:
	s_mov_b32 s12, 0x539782a
	v_mul_hi_u32 v6, v4, s12
	s_mul_hi_u32 s12, s0, s26
	s_mul_i32 s11, s11, s17
	s_mul_hi_u32 s13, s10, s17
	v_mul_u32_u24_e32 v6, 49, v6
	v_sub_u32_e32 v26, v4, v6
	v_mul_u32_u24_e32 v4, 6, v26
	v_lshlrev_b32_e32 v4, 3, v4
	global_load_dwordx4 v[6:9], v4, s[8:9] offset:352
	global_load_dwordx4 v[10:13], v4, s[8:9] offset:336
	;; [unrolled: 1-line block ×3, first 2 shown]
	ds_read2_b64 v[18:21], v5 offset0:4 offset1:249
	ds_read2_b64 v[22:25], v3 offset0:10 offset1:255
	s_mul_i32 s9, s1, s26
	s_add_i32 s9, s12, s9
	s_add_i32 s11, s13, s11
	s_mul_i32 s8, s0, s26
	s_load_dwordx2 s[4:5], s[4:5], 0x60
	s_mul_i32 s2, s23, s2
	s_mul_i32 s10, s10, s17
	s_waitcnt vmcnt(2) lgkmcnt(0)
	v_mul_f32_e32 v3, v9, v19
	v_mul_f32_e32 v4, v7, v25
	;; [unrolled: 1-line block ×4, first 2 shown]
	v_fma_f32 v18, v8, v18, -v3
	s_waitcnt vmcnt(1)
	v_mul_f32_e32 v3, v13, v23
	v_fma_f32 v24, v6, v24, -v4
	v_fmac_f32_e32 v27, v6, v25
	v_fmac_f32_e32 v9, v8, v19
	v_mul_f32_e32 v13, v13, v22
	v_fma_f32 v19, v12, v22, -v3
	ds_read2_b64 v[3:6], v2 offset1:245
	s_waitcnt vmcnt(0)
	v_mul_f32_e32 v7, v15, v21
	v_fmac_f32_e32 v13, v12, v23
	v_mul_f32_e32 v12, v15, v20
	v_fma_f32 v15, v14, v20, -v7
	ds_read_b64 v[7:8], v2 offset:11760
	s_waitcnt lgkmcnt(1)
	v_mul_f32_e32 v2, v11, v6
	v_fmac_f32_e32 v12, v14, v21
	v_mul_f32_e32 v11, v11, v5
	v_fma_f32 v2, v10, v5, -v2
	s_waitcnt lgkmcnt(0)
	v_mul_f32_e32 v14, v17, v8
	v_mul_f32_e32 v5, v17, v7
	v_fmac_f32_e32 v11, v10, v6
	v_fma_f32 v6, v16, v7, -v14
	v_fmac_f32_e32 v5, v16, v8
	v_sub_f32_e32 v7, v18, v24
	v_sub_f32_e32 v8, v19, v15
	v_sub_f32_e32 v10, v2, v6
	v_add_f32_e32 v18, v24, v18
	v_add_f32_e32 v15, v19, v15
	v_add_f32_e32 v2, v2, v6
	v_sub_f32_e32 v6, v7, v8
	v_add_f32_e32 v14, v27, v9
	v_add_f32_e32 v16, v13, v12
	v_add_f32_e32 v17, v11, v5
	v_sub_f32_e32 v9, v9, v27
	v_sub_f32_e32 v22, v2, v18
	v_add_f32_e32 v23, v15, v2
	v_sub_f32_e32 v25, v8, v10
	v_mul_f32_e32 v27, 0xbf08b237, v6
	v_sub_f32_e32 v12, v13, v12
	v_sub_f32_e32 v11, v11, v5
	v_add_f32_e32 v5, v7, v8
	v_sub_f32_e32 v7, v10, v7
	v_sub_f32_e32 v19, v17, v14
	v_add_f32_e32 v20, v16, v17
	v_sub_f32_e32 v21, v18, v15
	v_add_f32_e32 v6, v18, v23
	v_mul_f32_e32 v18, 0x3f4a47b2, v22
	v_mul_f32_e32 v22, 0x3f5ff5aa, v25
	v_mov_b32_e32 v23, v27
	v_add_f32_e32 v24, v9, v12
	v_add_f32_e32 v10, v5, v10
	v_mul_f32_e32 v19, 0x3f4a47b2, v19
	v_add_f32_e32 v5, v14, v20
	v_add_f32_e32 v3, v6, v3
	v_fma_f32 v22, v7, s18, -v22
	v_fmac_f32_e32 v23, 0x3eae86e6, v7
	v_mov_b32_e32 v7, v18
	v_sub_f32_e32 v13, v14, v16
	v_add_f32_e32 v4, v5, v4
	v_mul_f32_e32 v14, 0x3d64c772, v21
	v_add_f32_e32 v20, v24, v11
	v_mov_b32_e32 v24, v19
	v_fmac_f32_e32 v7, 0x3d64c772, v21
	v_mov_b32_e32 v21, v3
	v_sub_f32_e32 v16, v16, v17
	v_mul_f32_e32 v8, 0x3d64c772, v13
	v_fmac_f32_e32 v24, 0x3d64c772, v13
	v_mov_b32_e32 v13, v4
	v_fmac_f32_e32 v21, 0xbf955555, v6
	v_sub_f32_e32 v17, v9, v12
	v_fmac_f32_e32 v13, 0xbf955555, v5
	v_add_f32_e32 v28, v7, v21
	v_sub_f32_e32 v7, v11, v9
	v_fma_f32 v9, v16, s7, -v19
	v_sub_f32_e32 v2, v15, v2
	v_add_f32_e32 v15, v9, v13
	v_sub_f32_e32 v9, v12, v11
	v_mul_f32_e32 v17, 0xbf08b237, v17
	v_mul_f32_e32 v11, 0x3f5ff5aa, v9
	v_mov_b32_e32 v29, v17
	v_fma_f32 v19, v7, s18, -v11
	v_fma_f32 v11, v16, s15, -v8
	v_add_f32_e32 v24, v24, v13
	v_fmac_f32_e32 v29, 0x3eae86e6, v7
	v_fma_f32 v7, v2, s7, -v18
	v_add_f32_e32 v11, v11, v13
	v_fma_f32 v12, v25, s14, -v27
	v_fma_f32 v13, v9, s14, -v17
	;; [unrolled: 1-line block ×3, first 2 shown]
	v_fmac_f32_e32 v12, 0x3ee1c552, v10
	v_fmac_f32_e32 v13, 0x3ee1c552, v20
	v_add_f32_e32 v2, v2, v21
	v_fmac_f32_e32 v23, 0x3ee1c552, v10
	v_fmac_f32_e32 v22, 0x3ee1c552, v10
	v_sub_f32_e32 v10, v11, v12
	v_add_f32_e32 v9, v13, v2
	v_add_f32_e32 v12, v12, v11
	v_sub_f32_e32 v11, v2, v13
	v_mad_u64_u32 v[13:14], s[12:13], s0, v1, 0
	v_add_f32_e32 v18, v7, v21
	v_fmac_f32_e32 v19, 0x3ee1c552, v20
	v_add_f32_e32 v8, v22, v15
	v_sub_f32_e32 v16, v15, v22
	v_add_f32_e32 v15, v19, v18
	v_sub_f32_e32 v7, v18, v19
	v_mad_u64_u32 v[17:18], s[0:1], s1, v1, v[14:15]
	s_mov_b32 s0, 0x10b7e6f
	v_mul_hi_u32 v0, v0, s0
	s_movk_i32 s0, 0x157
	v_mov_b32_e32 v14, v17
	v_lshlrev_b64 v[13:14], 3, v[13:14]
	v_mad_u32_u24 v0, v0, s0, v26
	s_lshl_b64 s[0:1], s[8:9], 3
	s_add_u32 s4, s4, s0
	s_addc_u32 s5, s5, s1
	s_lshl_b64 s[0:1], s[2:3], 3
	s_add_u32 s2, s4, s0
	v_mul_lo_u32 v17, v0, s6
	s_addc_u32 s3, s5, s1
	s_lshl_b64 s[0:1], s[10:11], 3
	s_add_u32 s0, s2, s0
	s_addc_u32 s1, s3, s1
	v_mov_b32_e32 v18, 0
	v_mov_b32_e32 v0, s1
	v_add_co_u32_e32 v19, vcc, s0, v13
	v_fmac_f32_e32 v29, 0x3ee1c552, v20
	v_addc_co_u32_e32 v20, vcc, v0, v14, vcc
	v_lshlrev_b64 v[13:14], 3, v[17:18]
	s_mul_i32 s0, s6, 49
	v_add_co_u32_e32 v13, vcc, v19, v13
	v_addc_co_u32_e32 v14, vcc, v20, v14, vcc
	v_add_u32_e32 v17, s0, v17
	global_store_dwordx2 v[13:14], v[3:4], off
	v_lshlrev_b64 v[3:4], 3, v[17:18]
	v_sub_f32_e32 v2, v24, v23
	v_add_co_u32_e32 v3, vcc, v19, v3
	v_add_f32_e32 v1, v29, v28
	v_addc_co_u32_e32 v4, vcc, v20, v4, vcc
	v_add_u32_e32 v17, s0, v17
	global_store_dwordx2 v[3:4], v[1:2], off
	v_lshlrev_b64 v[0:1], 3, v[17:18]
	v_add_u32_e32 v17, s0, v17
	v_add_co_u32_e32 v0, vcc, v19, v0
	v_addc_co_u32_e32 v1, vcc, v20, v1, vcc
	global_store_dwordx2 v[0:1], v[15:16], off
	v_lshlrev_b64 v[0:1], 3, v[17:18]
	v_add_u32_e32 v17, s0, v17
	v_add_co_u32_e32 v0, vcc, v19, v0
	v_addc_co_u32_e32 v1, vcc, v20, v1, vcc
	;; [unrolled: 5-line block ×4, first 2 shown]
	global_store_dwordx2 v[0:1], v[7:8], off
	v_lshlrev_b64 v[0:1], 3, v[17:18]
	v_add_f32_e32 v6, v23, v24
	v_add_co_u32_e32 v0, vcc, v19, v0
	v_sub_f32_e32 v5, v28, v29
	v_addc_co_u32_e32 v1, vcc, v20, v1, vcc
	global_store_dwordx2 v[0:1], v[5:6], off
.LBB0_8:
	s_endpgm
	.section	.rodata,"a",@progbits
	.p2align	6, 0x0
	.amdhsa_kernel fft_rtc_fwd_len343_factors_7_7_7_wgs_245_tpt_49_sp_op_CI_CI_sbrc_z_xy_unaligned_dirReg
		.amdhsa_group_segment_fixed_size 0
		.amdhsa_private_segment_fixed_size 0
		.amdhsa_kernarg_size 104
		.amdhsa_user_sgpr_count 6
		.amdhsa_user_sgpr_private_segment_buffer 1
		.amdhsa_user_sgpr_dispatch_ptr 0
		.amdhsa_user_sgpr_queue_ptr 0
		.amdhsa_user_sgpr_kernarg_segment_ptr 1
		.amdhsa_user_sgpr_dispatch_id 0
		.amdhsa_user_sgpr_flat_scratch_init 0
		.amdhsa_user_sgpr_private_segment_size 0
		.amdhsa_uses_dynamic_stack 0
		.amdhsa_system_sgpr_private_segment_wavefront_offset 0
		.amdhsa_system_sgpr_workgroup_id_x 1
		.amdhsa_system_sgpr_workgroup_id_y 0
		.amdhsa_system_sgpr_workgroup_id_z 0
		.amdhsa_system_sgpr_workgroup_info 0
		.amdhsa_system_vgpr_workitem_id 0
		.amdhsa_next_free_vgpr 41
		.amdhsa_next_free_sgpr 30
		.amdhsa_reserve_vcc 1
		.amdhsa_reserve_flat_scratch 0
		.amdhsa_float_round_mode_32 0
		.amdhsa_float_round_mode_16_64 0
		.amdhsa_float_denorm_mode_32 3
		.amdhsa_float_denorm_mode_16_64 3
		.amdhsa_dx10_clamp 1
		.amdhsa_ieee_mode 1
		.amdhsa_fp16_overflow 0
		.amdhsa_exception_fp_ieee_invalid_op 0
		.amdhsa_exception_fp_denorm_src 0
		.amdhsa_exception_fp_ieee_div_zero 0
		.amdhsa_exception_fp_ieee_overflow 0
		.amdhsa_exception_fp_ieee_underflow 0
		.amdhsa_exception_fp_ieee_inexact 0
		.amdhsa_exception_int_div_zero 0
	.end_amdhsa_kernel
	.text
.Lfunc_end0:
	.size	fft_rtc_fwd_len343_factors_7_7_7_wgs_245_tpt_49_sp_op_CI_CI_sbrc_z_xy_unaligned_dirReg, .Lfunc_end0-fft_rtc_fwd_len343_factors_7_7_7_wgs_245_tpt_49_sp_op_CI_CI_sbrc_z_xy_unaligned_dirReg
                                        ; -- End function
	.section	.AMDGPU.csdata,"",@progbits
; Kernel info:
; codeLenInByte = 4000
; NumSgprs: 34
; NumVgprs: 41
; ScratchSize: 0
; MemoryBound: 0
; FloatMode: 240
; IeeeMode: 1
; LDSByteSize: 0 bytes/workgroup (compile time only)
; SGPRBlocks: 4
; VGPRBlocks: 10
; NumSGPRsForWavesPerEU: 34
; NumVGPRsForWavesPerEU: 41
; Occupancy: 5
; WaveLimiterHint : 1
; COMPUTE_PGM_RSRC2:SCRATCH_EN: 0
; COMPUTE_PGM_RSRC2:USER_SGPR: 6
; COMPUTE_PGM_RSRC2:TRAP_HANDLER: 0
; COMPUTE_PGM_RSRC2:TGID_X_EN: 1
; COMPUTE_PGM_RSRC2:TGID_Y_EN: 0
; COMPUTE_PGM_RSRC2:TGID_Z_EN: 0
; COMPUTE_PGM_RSRC2:TIDIG_COMP_CNT: 0
	.type	__hip_cuid_ddc79c860f906beb,@object ; @__hip_cuid_ddc79c860f906beb
	.section	.bss,"aw",@nobits
	.globl	__hip_cuid_ddc79c860f906beb
__hip_cuid_ddc79c860f906beb:
	.byte	0                               ; 0x0
	.size	__hip_cuid_ddc79c860f906beb, 1

	.ident	"AMD clang version 19.0.0git (https://github.com/RadeonOpenCompute/llvm-project roc-6.4.0 25133 c7fe45cf4b819c5991fe208aaa96edf142730f1d)"
	.section	".note.GNU-stack","",@progbits
	.addrsig
	.addrsig_sym __hip_cuid_ddc79c860f906beb
	.amdgpu_metadata
---
amdhsa.kernels:
  - .args:
      - .actual_access:  read_only
        .address_space:  global
        .offset:         0
        .size:           8
        .value_kind:     global_buffer
      - .offset:         8
        .size:           8
        .value_kind:     by_value
      - .actual_access:  read_only
        .address_space:  global
        .offset:         16
        .size:           8
        .value_kind:     global_buffer
      - .actual_access:  read_only
        .address_space:  global
        .offset:         24
        .size:           8
        .value_kind:     global_buffer
      - .actual_access:  read_only
        .address_space:  global
        .offset:         32
        .size:           8
        .value_kind:     global_buffer
      - .offset:         40
        .size:           8
        .value_kind:     by_value
      - .actual_access:  read_only
        .address_space:  global
        .offset:         48
        .size:           8
        .value_kind:     global_buffer
      - .actual_access:  read_only
        .address_space:  global
        .offset:         56
        .size:           8
        .value_kind:     global_buffer
      - .offset:         64
        .size:           4
        .value_kind:     by_value
      - .actual_access:  read_only
        .address_space:  global
        .offset:         72
        .size:           8
        .value_kind:     global_buffer
      - .actual_access:  read_only
        .address_space:  global
        .offset:         80
        .size:           8
        .value_kind:     global_buffer
      - .actual_access:  read_only
        .address_space:  global
        .offset:         88
        .size:           8
        .value_kind:     global_buffer
      - .actual_access:  write_only
        .address_space:  global
        .offset:         96
        .size:           8
        .value_kind:     global_buffer
    .group_segment_fixed_size: 0
    .kernarg_segment_align: 8
    .kernarg_segment_size: 104
    .language:       OpenCL C
    .language_version:
      - 2
      - 0
    .max_flat_workgroup_size: 245
    .name:           fft_rtc_fwd_len343_factors_7_7_7_wgs_245_tpt_49_sp_op_CI_CI_sbrc_z_xy_unaligned_dirReg
    .private_segment_fixed_size: 0
    .sgpr_count:     34
    .sgpr_spill_count: 0
    .symbol:         fft_rtc_fwd_len343_factors_7_7_7_wgs_245_tpt_49_sp_op_CI_CI_sbrc_z_xy_unaligned_dirReg.kd
    .uniform_work_group_size: 1
    .uses_dynamic_stack: false
    .vgpr_count:     41
    .vgpr_spill_count: 0
    .wavefront_size: 64
amdhsa.target:   amdgcn-amd-amdhsa--gfx906
amdhsa.version:
  - 1
  - 2
...

	.end_amdgpu_metadata
